;; amdgpu-corpus repo=llvm/llvm-project kind=harvested arch=n/a opt=n/a
// NOTE: Assertions have been autogenerated by utils/update_mc_test_checks.py UTC_ARGS: --unique --sort --version 6
// RUN: not llvm-mc -triple=amdgcn -mcpu=tonga %s -filetype=null 2>&1 | FileCheck -check-prefix=NOVI --implicit-check-not=error: %s

v_add_f16 v1, -32769, v2
// NOVI: :[[@LINE-1]]:15: error: invalid operand for instruction

v_add_f16 v1, 0x10000, v2
// NOVI: :[[@LINE-1]]:15: error: invalid operand for instruction

v_add_f16 v1, 0x1000ffff, v2
	;; [unrolled: 3-line block ×5, first 2 shown]
// NOVI: :[[@LINE-1]]:15: error: invalid operand for instruction

v_add_f32 v1, 0x0000000100000000, v2
// NOVI: :[[@LINE-1]]:15: error: invalid operand for instruction

v_add_f32 v1, 4294967296, v2
// NOVI: :[[@LINE-1]]:15: error: invalid operand for instruction

v_and_b32 v1, 0x0000000100000000, v2
// NOVI: :[[@LINE-1]]:15: error: invalid operand for instruction
